;; amdgpu-corpus repo=ROCm/rocFFT kind=compiled arch=gfx1030 opt=O3
	.text
	.amdgcn_target "amdgcn-amd-amdhsa--gfx1030"
	.amdhsa_code_object_version 6
	.protected	fft_rtc_fwd_len1540_factors_11_2_7_5_2_wgs_154_tpt_154_halfLds_half_ip_CI_unitstride_sbrr_R2C_dirReg ; -- Begin function fft_rtc_fwd_len1540_factors_11_2_7_5_2_wgs_154_tpt_154_halfLds_half_ip_CI_unitstride_sbrr_R2C_dirReg
	.globl	fft_rtc_fwd_len1540_factors_11_2_7_5_2_wgs_154_tpt_154_halfLds_half_ip_CI_unitstride_sbrr_R2C_dirReg
	.p2align	8
	.type	fft_rtc_fwd_len1540_factors_11_2_7_5_2_wgs_154_tpt_154_halfLds_half_ip_CI_unitstride_sbrr_R2C_dirReg,@function
fft_rtc_fwd_len1540_factors_11_2_7_5_2_wgs_154_tpt_154_halfLds_half_ip_CI_unitstride_sbrr_R2C_dirReg: ; @fft_rtc_fwd_len1540_factors_11_2_7_5_2_wgs_154_tpt_154_halfLds_half_ip_CI_unitstride_sbrr_R2C_dirReg
; %bb.0:
	s_clause 0x2
	s_load_dwordx4 s[8:11], s[4:5], 0x0
	s_load_dwordx2 s[2:3], s[4:5], 0x50
	s_load_dwordx2 s[12:13], s[4:5], 0x18
	v_mul_u32_u24_e32 v1, 0x1aa, v0
	v_mov_b32_e32 v3, 0
	v_add_nc_u32_sdwa v5, s6, v1 dst_sel:DWORD dst_unused:UNUSED_PAD src0_sel:DWORD src1_sel:WORD_1
	v_mov_b32_e32 v1, 0
	v_mov_b32_e32 v6, v3
	v_mov_b32_e32 v2, 0
	s_waitcnt lgkmcnt(0)
	v_cmp_lt_u64_e64 s0, s[10:11], 2
	s_and_b32 vcc_lo, exec_lo, s0
	s_cbranch_vccnz .LBB0_8
; %bb.1:
	s_load_dwordx2 s[0:1], s[4:5], 0x10
	v_mov_b32_e32 v1, 0
	s_add_u32 s6, s12, 8
	v_mov_b32_e32 v2, 0
	s_addc_u32 s7, s13, 0
	s_mov_b64 s[16:17], 1
	s_waitcnt lgkmcnt(0)
	s_add_u32 s14, s0, 8
	s_addc_u32 s15, s1, 0
.LBB0_2:                                ; =>This Inner Loop Header: Depth=1
	s_load_dwordx2 s[18:19], s[14:15], 0x0
                                        ; implicit-def: $vgpr7_vgpr8
	s_mov_b32 s0, exec_lo
	s_waitcnt lgkmcnt(0)
	v_or_b32_e32 v4, s19, v6
	v_cmpx_ne_u64_e32 0, v[3:4]
	s_xor_b32 s1, exec_lo, s0
	s_cbranch_execz .LBB0_4
; %bb.3:                                ;   in Loop: Header=BB0_2 Depth=1
	v_cvt_f32_u32_e32 v4, s18
	v_cvt_f32_u32_e32 v7, s19
	s_sub_u32 s0, 0, s18
	s_subb_u32 s20, 0, s19
	v_fmac_f32_e32 v4, 0x4f800000, v7
	v_rcp_f32_e32 v4, v4
	v_mul_f32_e32 v4, 0x5f7ffffc, v4
	v_mul_f32_e32 v7, 0x2f800000, v4
	v_trunc_f32_e32 v7, v7
	v_fmac_f32_e32 v4, 0xcf800000, v7
	v_cvt_u32_f32_e32 v7, v7
	v_cvt_u32_f32_e32 v4, v4
	v_mul_lo_u32 v8, s0, v7
	v_mul_hi_u32 v9, s0, v4
	v_mul_lo_u32 v10, s20, v4
	v_add_nc_u32_e32 v8, v9, v8
	v_mul_lo_u32 v9, s0, v4
	v_add_nc_u32_e32 v8, v8, v10
	v_mul_hi_u32 v10, v4, v9
	v_mul_lo_u32 v11, v4, v8
	v_mul_hi_u32 v12, v4, v8
	v_mul_hi_u32 v13, v7, v9
	v_mul_lo_u32 v9, v7, v9
	v_mul_hi_u32 v14, v7, v8
	v_mul_lo_u32 v8, v7, v8
	v_add_co_u32 v10, vcc_lo, v10, v11
	v_add_co_ci_u32_e32 v11, vcc_lo, 0, v12, vcc_lo
	v_add_co_u32 v9, vcc_lo, v10, v9
	v_add_co_ci_u32_e32 v9, vcc_lo, v11, v13, vcc_lo
	v_add_co_ci_u32_e32 v10, vcc_lo, 0, v14, vcc_lo
	v_add_co_u32 v8, vcc_lo, v9, v8
	v_add_co_ci_u32_e32 v9, vcc_lo, 0, v10, vcc_lo
	v_add_co_u32 v4, vcc_lo, v4, v8
	v_add_co_ci_u32_e32 v7, vcc_lo, v7, v9, vcc_lo
	v_mul_hi_u32 v8, s0, v4
	v_mul_lo_u32 v10, s20, v4
	v_mul_lo_u32 v9, s0, v7
	v_add_nc_u32_e32 v8, v8, v9
	v_mul_lo_u32 v9, s0, v4
	v_add_nc_u32_e32 v8, v8, v10
	v_mul_hi_u32 v10, v4, v9
	v_mul_lo_u32 v11, v4, v8
	v_mul_hi_u32 v12, v4, v8
	v_mul_hi_u32 v13, v7, v9
	v_mul_lo_u32 v9, v7, v9
	v_mul_hi_u32 v14, v7, v8
	v_mul_lo_u32 v8, v7, v8
	v_add_co_u32 v10, vcc_lo, v10, v11
	v_add_co_ci_u32_e32 v11, vcc_lo, 0, v12, vcc_lo
	v_add_co_u32 v9, vcc_lo, v10, v9
	v_add_co_ci_u32_e32 v9, vcc_lo, v11, v13, vcc_lo
	v_add_co_ci_u32_e32 v10, vcc_lo, 0, v14, vcc_lo
	v_add_co_u32 v8, vcc_lo, v9, v8
	v_add_co_ci_u32_e32 v9, vcc_lo, 0, v10, vcc_lo
	v_add_co_u32 v4, vcc_lo, v4, v8
	v_add_co_ci_u32_e32 v11, vcc_lo, v7, v9, vcc_lo
	v_mul_hi_u32 v13, v5, v4
	v_mad_u64_u32 v[9:10], null, v6, v4, 0
	v_mad_u64_u32 v[7:8], null, v5, v11, 0
	;; [unrolled: 1-line block ×3, first 2 shown]
	v_add_co_u32 v4, vcc_lo, v13, v7
	v_add_co_ci_u32_e32 v7, vcc_lo, 0, v8, vcc_lo
	v_add_co_u32 v4, vcc_lo, v4, v9
	v_add_co_ci_u32_e32 v4, vcc_lo, v7, v10, vcc_lo
	v_add_co_ci_u32_e32 v7, vcc_lo, 0, v12, vcc_lo
	v_add_co_u32 v4, vcc_lo, v4, v11
	v_add_co_ci_u32_e32 v9, vcc_lo, 0, v7, vcc_lo
	v_mul_lo_u32 v10, s19, v4
	v_mad_u64_u32 v[7:8], null, s18, v4, 0
	v_mul_lo_u32 v11, s18, v9
	v_sub_co_u32 v7, vcc_lo, v5, v7
	v_add3_u32 v8, v8, v11, v10
	v_sub_nc_u32_e32 v10, v6, v8
	v_subrev_co_ci_u32_e64 v10, s0, s19, v10, vcc_lo
	v_add_co_u32 v11, s0, v4, 2
	v_add_co_ci_u32_e64 v12, s0, 0, v9, s0
	v_sub_co_u32 v13, s0, v7, s18
	v_sub_co_ci_u32_e32 v8, vcc_lo, v6, v8, vcc_lo
	v_subrev_co_ci_u32_e64 v10, s0, 0, v10, s0
	v_cmp_le_u32_e32 vcc_lo, s18, v13
	v_cmp_eq_u32_e64 s0, s19, v8
	v_cndmask_b32_e64 v13, 0, -1, vcc_lo
	v_cmp_le_u32_e32 vcc_lo, s19, v10
	v_cndmask_b32_e64 v14, 0, -1, vcc_lo
	v_cmp_le_u32_e32 vcc_lo, s18, v7
	;; [unrolled: 2-line block ×3, first 2 shown]
	v_cndmask_b32_e64 v15, 0, -1, vcc_lo
	v_cmp_eq_u32_e32 vcc_lo, s19, v10
	v_cndmask_b32_e64 v7, v15, v7, s0
	v_cndmask_b32_e32 v10, v14, v13, vcc_lo
	v_add_co_u32 v13, vcc_lo, v4, 1
	v_add_co_ci_u32_e32 v14, vcc_lo, 0, v9, vcc_lo
	v_cmp_ne_u32_e32 vcc_lo, 0, v10
	v_cndmask_b32_e32 v8, v14, v12, vcc_lo
	v_cndmask_b32_e32 v10, v13, v11, vcc_lo
	v_cmp_ne_u32_e32 vcc_lo, 0, v7
	v_cndmask_b32_e32 v8, v9, v8, vcc_lo
	v_cndmask_b32_e32 v7, v4, v10, vcc_lo
.LBB0_4:                                ;   in Loop: Header=BB0_2 Depth=1
	s_andn2_saveexec_b32 s0, s1
	s_cbranch_execz .LBB0_6
; %bb.5:                                ;   in Loop: Header=BB0_2 Depth=1
	v_cvt_f32_u32_e32 v4, s18
	s_sub_i32 s1, 0, s18
	v_rcp_iflag_f32_e32 v4, v4
	v_mul_f32_e32 v4, 0x4f7ffffe, v4
	v_cvt_u32_f32_e32 v4, v4
	v_mul_lo_u32 v7, s1, v4
	v_mul_hi_u32 v7, v4, v7
	v_add_nc_u32_e32 v4, v4, v7
	v_mul_hi_u32 v4, v5, v4
	v_mul_lo_u32 v7, v4, s18
	v_add_nc_u32_e32 v8, 1, v4
	v_sub_nc_u32_e32 v7, v5, v7
	v_subrev_nc_u32_e32 v9, s18, v7
	v_cmp_le_u32_e32 vcc_lo, s18, v7
	v_cndmask_b32_e32 v7, v7, v9, vcc_lo
	v_cndmask_b32_e32 v4, v4, v8, vcc_lo
	v_cmp_le_u32_e32 vcc_lo, s18, v7
	v_add_nc_u32_e32 v8, 1, v4
	v_cndmask_b32_e32 v7, v4, v8, vcc_lo
	v_mov_b32_e32 v8, v3
.LBB0_6:                                ;   in Loop: Header=BB0_2 Depth=1
	s_or_b32 exec_lo, exec_lo, s0
	s_load_dwordx2 s[0:1], s[6:7], 0x0
	v_mul_lo_u32 v4, v8, s18
	v_mul_lo_u32 v11, v7, s19
	v_mad_u64_u32 v[9:10], null, v7, s18, 0
	s_add_u32 s16, s16, 1
	s_addc_u32 s17, s17, 0
	s_add_u32 s6, s6, 8
	s_addc_u32 s7, s7, 0
	;; [unrolled: 2-line block ×3, first 2 shown]
	v_add3_u32 v4, v10, v11, v4
	v_sub_co_u32 v5, vcc_lo, v5, v9
	v_sub_co_ci_u32_e32 v4, vcc_lo, v6, v4, vcc_lo
	s_waitcnt lgkmcnt(0)
	v_mul_lo_u32 v6, s1, v5
	v_mul_lo_u32 v4, s0, v4
	v_mad_u64_u32 v[1:2], null, s0, v5, v[1:2]
	v_cmp_ge_u64_e64 s0, s[16:17], s[10:11]
	s_and_b32 vcc_lo, exec_lo, s0
	v_add3_u32 v2, v6, v2, v4
	s_cbranch_vccnz .LBB0_9
; %bb.7:                                ;   in Loop: Header=BB0_2 Depth=1
	v_mov_b32_e32 v5, v7
	v_mov_b32_e32 v6, v8
	s_branch .LBB0_2
.LBB0_8:
	v_mov_b32_e32 v8, v6
	v_mov_b32_e32 v7, v5
.LBB0_9:
	s_lshl_b64 s[0:1], s[10:11], 3
	v_mul_hi_u32 v3, 0x1a98ef7, v0
	s_add_u32 s0, s12, s0
	s_addc_u32 s1, s13, s1
	s_load_dwordx2 s[0:1], s[0:1], 0x0
	s_load_dwordx2 s[4:5], s[4:5], 0x20
	v_mul_u32_u24_e32 v3, 0x9a, v3
	v_sub_nc_u32_e32 v0, v0, v3
	v_lshl_add_u32 v16, v0, 2, 0
	s_waitcnt lgkmcnt(0)
	v_mul_lo_u32 v4, s0, v8
	v_mul_lo_u32 v5, s1, v7
	v_mad_u64_u32 v[1:2], null, s0, v7, v[1:2]
	v_cmp_gt_u64_e32 vcc_lo, s[4:5], v[7:8]
	v_add3_u32 v2, v5, v2, v4
	v_lshlrev_b64 v[2:3], 2, v[1:2]
	s_and_saveexec_b32 s1, vcc_lo
	s_cbranch_execz .LBB0_11
; %bb.10:
	v_mov_b32_e32 v1, 0
	v_add_nc_u32_e32 v14, 0x900, v16
	v_add_nc_u32_e32 v15, 0xe00, v16
	;; [unrolled: 1-line block ×3, first 2 shown]
	v_lshlrev_b64 v[4:5], 2, v[0:1]
	v_add_co_u32 v1, s0, s2, v2
	v_add_co_ci_u32_e64 v6, s0, s3, v3, s0
	v_add_co_u32 v4, s0, v1, v4
	v_add_co_ci_u32_e64 v5, s0, v6, v5, s0
	;; [unrolled: 2-line block ×4, first 2 shown]
	s_clause 0x9
	global_load_dword v1, v[4:5], off
	global_load_dword v10, v[4:5], off offset:616
	global_load_dword v11, v[4:5], off offset:1232
	;; [unrolled: 1-line block ×9, first 2 shown]
	v_add_nc_u32_e32 v9, 0x400, v16
	s_waitcnt vmcnt(8)
	ds_write2_b32 v16, v1, v10 offset1:154
	s_waitcnt vmcnt(6)
	ds_write2_b32 v9, v11, v4 offset0:52 offset1:206
	s_waitcnt vmcnt(4)
	ds_write2_b32 v14, v5, v12 offset0:40 offset1:194
	s_waitcnt vmcnt(2)
	ds_write2_b32 v15, v6, v7 offset0:28 offset1:182
	s_waitcnt vmcnt(0)
	ds_write2_b32 v17, v13, v8 offset0:80 offset1:234
.LBB0_11:
	s_or_b32 exec_lo, exec_lo, s1
	s_waitcnt lgkmcnt(0)
	s_barrier
	buffer_gl0_inv
	ds_read2_b32 v[6:7], v16 offset1:140
	v_add_nc_u32_e32 v4, 0x400, v16
	ds_read_b32 v22, v16 offset:5600
	v_add_nc_u32_e32 v1, 0x1000, v16
	v_add_nc_u32_e32 v5, 0x800, v16
	;; [unrolled: 1-line block ×3, first 2 shown]
	ds_read2_b32 v[14:15], v4 offset0:24 offset1:164
	ds_read2_b32 v[8:9], v1 offset0:96 offset1:236
	;; [unrolled: 1-line block ×4, first 2 shown]
	v_mov_b32_e32 v43, 0xb853
	v_mov_b32_e32 v46, 0xbb47
	;; [unrolled: 1-line block ×5, first 2 shown]
	s_mov_b32 s1, exec_lo
	s_waitcnt lgkmcnt(0)
	s_barrier
	buffer_gl0_inv
	v_pk_add_f16 v17, v7, v22 neg_lo:[0,1] neg_hi:[0,1]
	v_pk_add_f16 v21, v22, v7
	v_pk_add_f16 v27, v9, v14
	v_mul_f16_sdwa v28, v17, v43 dst_sel:DWORD dst_unused:UNUSED_PAD src0_sel:WORD_1 src1_sel:DWORD
	v_lshrrev_b32_e32 v40, 16, v21
	v_mul_f16_e32 v38, 0xb853, v17
	v_pk_add_f16 v23, v14, v9 neg_lo:[0,1] neg_hi:[0,1]
	v_pk_add_f16 v26, v8, v15
	v_pk_add_f16 v20, v15, v8 neg_lo:[0,1] neg_hi:[0,1]
	v_fmamk_f16 v5, v21, 0x3abb, v28
	v_fma_f16 v19, v40, 0x3abb, -v38
	v_mul_f16_sdwa v32, v23, v46 dst_sel:DWORD dst_unused:UNUSED_PAD src0_sel:WORD_1 src1_sel:DWORD
	v_lshrrev_b32_e32 v42, 16, v27
	v_mul_f16_e32 v41, 0xbb47, v23
	v_pk_add_f16 v18, v12, v11 neg_lo:[0,1] neg_hi:[0,1]
	v_mul_f16_sdwa v29, v20, v1 dst_sel:DWORD dst_unused:UNUSED_PAD src0_sel:WORD_1 src1_sel:DWORD
	v_lshrrev_b32_e32 v39, 16, v26
	v_add_f16_e32 v1, v6, v5
	v_fmamk_f16 v5, v27, 0x36a6, v32
	v_mul_f16_e32 v36, 0xbbeb, v20
	v_add_f16_sdwa v19, v6, v19 dst_sel:DWORD dst_unused:UNUSED_PAD src0_sel:WORD_1 src1_sel:DWORD
	v_fma_f16 v25, v42, 0x36a6, -v41
	v_pk_add_f16 v24, v11, v12
	v_fmamk_f16 v31, v26, 0xb08e, v29
	v_add_f16_e32 v1, v5, v1
	v_mul_f16_sdwa v30, v18, v44 dst_sel:DWORD dst_unused:UNUSED_PAD src0_sel:WORD_1 src1_sel:DWORD
	v_fma_f16 v5, v39, 0xb08e, -v36
	v_add_f16_e32 v34, v25, v19
	v_lshrrev_b32_e32 v37, 16, v24
	v_mul_f16_e32 v33, 0xba0c, v18
	v_pk_add_f16 v19, v13, v10 neg_lo:[0,1] neg_hi:[0,1]
	v_pk_add_f16 v25, v10, v13
	v_add_f16_e32 v1, v31, v1
	v_add_f16_e32 v5, v5, v34
	v_fmamk_f16 v47, v24, 0xb93d, v30
	v_fma_f16 v48, v37, 0xb93d, -v33
	v_mul_f16_sdwa v31, v19, v45 dst_sel:DWORD dst_unused:UNUSED_PAD src0_sel:WORD_1 src1_sel:DWORD
	v_lshrrev_b32_e32 v35, 16, v25
	v_mul_f16_e32 v34, 0xb482, v19
	v_add_f16_e32 v1, v47, v1
	v_add_f16_e32 v47, v48, v5
	v_fmamk_f16 v5, v25, 0xbbad, v31
	v_fma_f16 v48, v35, 0xbbad, -v34
	v_add_f16_e32 v5, v5, v1
	v_add_f16_e32 v1, v48, v47
	v_cmpx_gt_u32_e32 0x8c, v0
	s_cbranch_execz .LBB0_13
; %bb.12:
	v_pk_add_f16 v7, v6, v7
	v_mul_f16_sdwa v46, v17, v46 dst_sel:DWORD dst_unused:UNUSED_PAD src0_sel:WORD_1 src1_sel:DWORD
	v_mov_b32_e32 v47, 0x3482
	v_mul_f16_sdwa v48, v23, v44 dst_sel:DWORD dst_unused:UNUSED_PAD src0_sel:WORD_1 src1_sel:DWORD
	v_mov_b32_e32 v49, 0x3beb
	v_pk_add_f16 v7, v7, v14
	v_mul_f16_e32 v14, 0xb08e, v40
	v_mul_f16_e32 v50, 0xbbad, v42
	v_mul_f16_sdwa v47, v20, v47 dst_sel:DWORD dst_unused:UNUSED_PAD src0_sel:WORD_1 src1_sel:DWORD
	v_fmamk_f16 v54, v27, 0xb93d, v48
	v_pk_add_f16 v7, v7, v15
	v_fmamk_f16 v15, v21, 0x36a6, v46
	v_fmamk_f16 v53, v17, 0x3beb, v14
	v_mul_f16_sdwa v55, v18, v49 dst_sel:DWORD dst_unused:UNUSED_PAD src0_sel:WORD_1 src1_sel:DWORD
	v_mul_f16_e32 v51, 0x36a6, v39
	v_pk_add_f16 v7, v7, v12
	v_add_f16_e32 v15, v6, v15
	v_fmamk_f16 v12, v23, 0xb482, v50
	v_add_f16_sdwa v53, v6, v53 dst_sel:DWORD dst_unused:UNUSED_PAD src0_sel:WORD_1 src1_sel:DWORD
	v_fmamk_f16 v56, v24, 0xb08e, v55
	v_pk_add_f16 v7, v7, v13
	v_fmamk_f16 v13, v26, 0xbbad, v47
	v_add_f16_e32 v15, v54, v15
	v_mul_f16_e32 v52, 0x3abb, v37
	v_fmamk_f16 v54, v20, 0xbb47, v51
	v_pk_add_f16 v7, v7, v10
	v_add_f16_e32 v10, v12, v53
	v_add_f16_e32 v12, v13, v15
	v_mov_b32_e32 v13, 0x3853
	v_pk_mul_f16 v15, 0x36a6b08e, v21
	v_pk_add_f16 v7, v7, v11
	v_add_f16_e32 v10, v54, v10
	v_add_f16_e32 v11, v56, v12
	v_mul_f16_sdwa v12, v19, v13 dst_sel:DWORD dst_unused:UNUSED_PAD src0_sel:WORD_1 src1_sel:DWORD
	v_fmamk_f16 v13, v18, 0x3853, v52
	v_pk_fma_f16 v53, 0xbbebbb47, v17, v15 op_sel:[0,0,1] op_sel_hi:[1,1,0]
	v_pk_mul_f16 v54, 0xb93dbbad, v27
	v_mul_f16_e32 v56, 0xb93d, v35
	v_fmamk_f16 v57, v25, 0x3abb, v12
	v_add_f16_e32 v10, v13, v10
	v_alignbit_b32 v13, s0, v53, 16
	v_pk_fma_f16 v58, 0x3482ba0c, v23, v54 op_sel:[0,0,1] op_sel_hi:[1,1,0]
	v_fmamk_f16 v59, v19, 0x3a0c, v56
	v_add_f16_e32 v11, v57, v11
	v_mul_f16_e32 v57, 0xb93d, v40
	v_pk_add_f16 v13, v6, v13
	v_alignbit_b32 v60, s0, v58, 16
	v_add_f16_e32 v10, v59, v10
	v_pk_mul_f16 v59, 0xbbad36a6, v26
	v_fmamk_f16 v61, v17, 0x3a0c, v57
	v_mul_f16_e32 v62, 0xb08e, v42
	v_mul_f16_sdwa v44, v17, v44 dst_sel:DWORD dst_unused:UNUSED_PAD src0_sel:WORD_1 src1_sel:DWORD
	v_pk_add_f16 v13, v60, v13
	v_pk_fma_f16 v60, 0x3b473482, v20, v59 op_sel:[0,0,1] op_sel_hi:[1,1,0]
	v_add_f16_sdwa v61, v6, v61 dst_sel:DWORD dst_unused:UNUSED_PAD src0_sel:WORD_1 src1_sel:DWORD
	v_fmamk_f16 v63, v23, 0xbbeb, v62
	v_mul_f16_e32 v64, 0x3abb, v39
	v_fmamk_f16 v65, v21, 0xb93d, v44
	v_mul_f16_sdwa v49, v23, v49 dst_sel:DWORD dst_unused:UNUSED_PAD src0_sel:WORD_1 src1_sel:DWORD
	v_fma_f16 v44, v21, 0xb93d, -v44
	v_alignbit_b32 v66, s0, v60, 16
	v_add_f16_e32 v61, v63, v61
	v_fmamk_f16 v63, v20, 0x3853, v64
	v_add_f16_e32 v65, v6, v65
	v_fmamk_f16 v67, v27, 0xb08e, v49
	v_mul_f16_sdwa v43, v20, v43 dst_sel:DWORD dst_unused:UNUSED_PAD src0_sel:WORD_1 src1_sel:DWORD
	v_add_f16_e32 v44, v6, v44
	v_fma_f16 v49, v27, 0xb08e, -v49
	v_mul_f16_e32 v40, 0x3abb, v40
	v_pk_add_f16 v13, v66, v13
	v_add_f16_e32 v61, v63, v61
	v_add_f16_e32 v63, v67, v65
	v_fmamk_f16 v65, v26, 0x3abb, v43
	v_mul_f16_sdwa v45, v18, v45 dst_sel:DWORD dst_unused:UNUSED_PAD src0_sel:WORD_1 src1_sel:DWORD
	v_mov_b32_e32 v66, 0x3b47
	v_add_f16_e32 v44, v49, v44
	v_fma_f16 v43, v26, 0x3abb, -v43
	v_mul_f16_e32 v42, 0x36a6, v42
	v_add_f16_e32 v38, v38, v40
	v_mul_f16_sdwa v66, v19, v66 dst_sel:DWORD dst_unused:UNUSED_PAD src0_sel:WORD_1 src1_sel:DWORD
	v_fmac_f16_e32 v57, 0xba0c, v17
	v_add_f16_e32 v43, v43, v44
	v_fma_f16 v44, v24, 0xbbad, -v45
	v_add_f16_e32 v40, v41, v42
	v_add_f16_sdwa v38, v6, v38 dst_sel:DWORD dst_unused:UNUSED_PAD src0_sel:WORD_1 src1_sel:DWORD
	v_add_f16_sdwa v57, v6, v57 dst_sel:DWORD dst_unused:UNUSED_PAD src0_sel:WORD_1 src1_sel:DWORD
	v_fmac_f16_e32 v62, 0x3beb, v23
	v_add_f16_e32 v43, v44, v43
	v_fma_f16 v44, v25, 0x36a6, -v66
	v_add_f16_e32 v38, v40, v38
	v_mul_f16_e32 v40, 0x3abb, v21
	v_add_f16_e32 v63, v65, v63
	v_fmamk_f16 v65, v24, 0xbbad, v45
	v_add_f16_e32 v43, v44, v43
	v_mul_f16_e32 v44, 0x36a6, v27
	v_sub_f16_e32 v28, v40, v28
	v_fma_f16 v46, v21, 0x36a6, -v46
	v_mul_f16_e32 v39, 0xb08e, v39
	v_mul_f16_e32 v40, 0xb08e, v26
	v_sub_f16_e32 v32, v44, v32
	v_add_f16_e32 v28, v6, v28
	v_add_f16_e32 v57, v62, v57
	v_fmac_f16_e32 v64, 0xb853, v20
	v_add_f16_e32 v62, v65, v63
	v_mul_f16_e32 v63, 0xbbad, v37
	v_add_f16_e32 v41, v6, v46
	v_fma_f16 v42, v27, 0xb93d, -v48
	v_add_f16_e32 v36, v36, v39
	v_mul_f16_e32 v37, 0xb93d, v37
	v_add_f16_e32 v28, v32, v28
	v_sub_f16_e32 v29, v40, v29
	v_mul_f16_e32 v40, 0xb93d, v24
	v_add_f16_e32 v57, v64, v57
	v_mul_f16_e32 v64, 0x36a6, v35
	v_add_f16_e32 v41, v42, v41
	v_fma_f16 v42, v26, 0xbbad, -v47
	v_pk_fma_f16 v15, 0xbbebbb47, v17, v15 op_sel:[0,0,1] op_sel_hi:[1,1,0] neg_lo:[0,1,0] neg_hi:[0,1,0]
	v_add_f16_e32 v36, v36, v38
	v_add_f16_e32 v33, v33, v37
	;; [unrolled: 1-line block ×3, first 2 shown]
	v_sub_f16_e32 v30, v40, v30
	v_mul_f16_e32 v40, 0xbbad, v25
	v_mul_f16_e32 v35, 0xbbad, v35
	v_add_f16_e32 v39, v42, v41
	v_pk_fma_f16 v41, 0x3482ba0c, v23, v54 op_sel:[0,0,1] op_sel_hi:[1,1,0] neg_lo:[0,1,0] neg_hi:[0,1,0]
	v_add_f16_sdwa v38, v6, v15 dst_sel:DWORD dst_unused:UNUSED_PAD src0_sel:WORD_1 src1_sel:DWORD
	v_add_f16_e32 v33, v33, v36
	v_add_f16_e32 v34, v34, v35
	;; [unrolled: 1-line block ×3, first 2 shown]
	v_pk_add_f16 v7, v7, v8
	v_sub_f16_e32 v8, v40, v31
	v_bfi_b32 v15, 0xffff, v53, v15
	v_pk_mul_f16 v32, 0xb08e3abb, v24
	v_pk_fma_f16 v42, 0x3b473482, v20, v59 op_sel:[0,0,1] op_sel_hi:[1,1,0] neg_lo:[0,1,0] neg_hi:[0,1,0]
	v_add_f16_e32 v31, v34, v33
	v_pk_add_f16 v7, v7, v9
	v_add_f16_e32 v8, v8, v28
	v_pk_add_f16 v9, v6, v15 op_sel:[1,0] op_sel_hi:[0,1]
	v_bfi_b32 v15, 0xffff, v58, v41
	v_pk_mul_f16 v21, 0xbbad, v21 op_sel_hi:[0,1]
	v_pk_fma_f16 v37, 0xb8533beb, v18, v32 op_sel:[0,0,1] op_sel_hi:[1,1,0] neg_lo:[0,1,0] neg_hi:[0,1,0]
	v_alignbit_b32 v36, s0, v6, 16
	v_pk_fma_f16 v32, 0xb8533beb, v18, v32 op_sel:[0,0,1] op_sel_hi:[1,1,0]
	v_mad_u32_u24 v28, v0, 40, v16
	v_pk_add_f16 v7, v7, v22
	v_pack_b32_f16 v8, v8, v31
	v_pk_add_f16 v9, v15, v9
	v_bfi_b32 v15, 0xffff, v60, v42
	v_pk_fma_f16 v22, 0xb482, v17, v21 op_sel:[0,0,1] op_sel_hi:[0,1,0] neg_lo:[0,1,0] neg_hi:[0,1,0]
	v_pk_mul_f16 v27, 0x3abb, v27 op_sel_hi:[0,1]
	v_fmac_f16_e32 v14, 0xbbeb, v17
	v_pk_fma_f16 v17, 0xb482, v17, v21 op_sel:[0,0,1] op_sel_hi:[0,1,0]
	v_pk_mul_f16 v29, 0x3abbb93d, v25
	v_fma_f16 v44, v24, 0xb08e, -v55
	ds_write2_b32 v28, v7, v8 offset1:1
	v_pk_add_f16 v7, v15, v9
	v_bfi_b32 v8, 0xffff, v32, v37
	v_pk_add_f16 v9, v36, v22
	v_pk_fma_f16 v15, 0x3853, v23, v27 op_sel:[0,0,1] op_sel_hi:[0,1,0] neg_lo:[0,1,0] neg_hi:[0,1,0]
	v_pk_mul_f16 v26, 0xb93d, v26 op_sel_hi:[0,1]
	v_alignbit_b32 v22, s0, v22, 16
	v_fmac_f16_e32 v50, 0x3482, v23
	v_pk_add_f16 v17, v6, v17 op_sel:[1,0] op_sel_hi:[0,1]
	v_pk_fma_f16 v23, 0x3853, v23, v27 op_sel:[0,0,1] op_sel_hi:[0,1,0]
	v_add_f16_sdwa v14, v6, v14 dst_sel:DWORD dst_unused:UNUSED_PAD src0_sel:WORD_1 src1_sel:DWORD
	v_add_f16_e32 v39, v44, v39
	v_pk_fma_f16 v44, 0xba0c3853, v19, v29 op_sel:[0,0,1] op_sel_hi:[1,1,0] neg_lo:[0,1,0] neg_hi:[0,1,0]
	v_pk_add_f16 v7, v8, v7
	v_pk_fma_f16 v8, 0xba0c3853, v19, v29 op_sel:[0,0,1] op_sel_hi:[1,1,0]
	v_pk_add_f16 v9, v15, v9
	v_pk_fma_f16 v21, 0xba0c, v20, v26 op_sel:[0,0,1] op_sel_hi:[0,1,0] neg_lo:[0,1,0] neg_hi:[0,1,0]
	v_pk_mul_f16 v24, 0x36a6, v24 op_sel_hi:[0,1]
	v_pk_add_f16 v6, v6, v22
	v_alignbit_b32 v15, s0, v15, 16
	v_fmac_f16_e32 v51, 0x3b47, v20
	v_pk_add_f16 v17, v23, v17
	v_pk_fma_f16 v20, 0xba0c, v20, v26 op_sel:[0,0,1] op_sel_hi:[0,1,0]
	v_add_f16_e32 v14, v50, v14
	v_bfi_b32 v8, 0xffff, v8, v44
	v_pk_add_f16 v9, v21, v9
	v_pk_fma_f16 v22, 0x3b47, v18, v24 op_sel:[0,0,1] op_sel_hi:[0,1,0] neg_lo:[0,1,0] neg_hi:[0,1,0]
	v_pk_mul_f16 v23, 0xb08e, v25 op_sel_hi:[0,1]
	v_pk_add_f16 v6, v15, v6
	v_alignbit_b32 v15, s0, v21, 16
	v_fmamk_f16 v49, v18, 0x3482, v63
	v_fmac_f16_e32 v63, 0xb482, v18
	v_fmac_f16_e32 v52, 0xb853, v18
	v_pk_mul_f16 v35, 0xba0c3853, v19
	v_mul_f16_e32 v30, 0x3b47, v19
	v_pk_add_f16 v17, v20, v17
	v_pk_fma_f16 v18, 0x3b47, v18, v24 op_sel:[0,0,1] op_sel_hi:[0,1,0]
	v_lshlrev_b32_e32 v13, 16, v13
	v_add_f16_e32 v38, v41, v38
	v_add_f16_e32 v14, v51, v14
	v_fmamk_f16 v65, v25, 0x36a6, v66
	v_pk_add_f16 v7, v8, v7
	v_pk_add_f16 v8, v22, v9
	v_pk_fma_f16 v9, 0xbbeb, v19, v23 op_sel:[0,0,1] op_sel_hi:[0,1,0] neg_lo:[0,1,0] neg_hi:[0,1,0]
	v_pk_add_f16 v6, v15, v6
	v_alignbit_b32 v15, s0, v22, 16
	v_pk_add_f16 v17, v18, v17
	v_pack_b32_f16 v18, v49, v29
	v_bfi_b32 v20, 0xffff, v61, v35
	v_pk_add_f16 v21, v64, v30 neg_lo:[0,1] neg_hi:[0,1]
	v_pk_add_f16 v13, v32, v13
	v_add_f16_e32 v38, v42, v38
	v_add_f16_e32 v14, v52, v14
	v_fmac_f16_e32 v56, 0xba0c, v19
	v_fma_f16 v12, v25, 0x3abb, -v12
	v_add_f16_e32 v45, v65, v62
	v_add_f16_e32 v57, v63, v57
	v_fmamk_f16 v62, v19, 0x3b47, v64
	v_pk_fma_f16 v19, 0xbbeb, v19, v23 op_sel:[0,0,1] op_sel_hi:[0,1,0]
	v_pk_add_f16 v6, v15, v6
	v_alignbit_b32 v15, s0, v9, 16
	v_pk_add_f16 v18, v18, v20
	v_bfi_b32 v13, 0xffff, v21, v13
	v_add_f16_e32 v38, v37, v38
	v_add_f16_e32 v14, v56, v14
	;; [unrolled: 1-line block ×4, first 2 shown]
	v_pk_add_f16 v8, v9, v8
	v_pk_add_f16 v9, v19, v17
	;; [unrolled: 1-line block ×4, first 2 shown]
	v_add_f16_e32 v38, v44, v38
	v_alignbit_b32 v14, v14, v7, 16
	v_pack_b32_f16 v7, v12, v7
	v_pack_b32_f16 v12, v43, v46
	v_alignbit_b32 v8, v8, v9, 16
	v_pack_b32_f16 v6, v6, v9
	v_alignbit_b32 v9, v10, v13, 16
	v_pack_b32_f16 v10, v45, v13
	v_pack_b32_f16 v11, v11, v38
	v_perm_b32 v13, v1, v5, 0x5040100
	ds_write2_b32 v28, v7, v14 offset0:2 offset1:3
	ds_write_b32 v28, v12 offset:16
	ds_write2_b32 v28, v6, v8 offset0:5 offset1:6
	ds_write2_b32 v28, v10, v9 offset0:7 offset1:8
	;; [unrolled: 1-line block ×3, first 2 shown]
.LBB0_13:
	s_or_b32 exec_lo, exec_lo, s1
	v_and_b32_e32 v6, 0xff, v0
	v_add_nc_u32_e32 v8, 0x268, v0
	v_mov_b32_e32 v9, 0xba2f
	v_add_nc_u32_e32 v10, 0x1ce, v0
	v_add_nc_u32_e32 v11, 0x134, v0
	v_mul_lo_u16 v6, 0x75, v6
	v_add_nc_u32_e32 v17, 0x9a, v0
	v_mul_u32_u24_sdwa v12, v8, v9 dst_sel:DWORD dst_unused:UNUSED_PAD src0_sel:WORD_0 src1_sel:DWORD
	v_mul_u32_u24_sdwa v13, v10, v9 dst_sel:DWORD dst_unused:UNUSED_PAD src0_sel:WORD_0 src1_sel:DWORD
	;; [unrolled: 1-line block ×3, first 2 shown]
	v_lshrrev_b16 v6, 8, v6
	v_mul_u32_u24_sdwa v19, v17, v9 dst_sel:DWORD dst_unused:UNUSED_PAD src0_sel:WORD_0 src1_sel:DWORD
	v_lshrrev_b32_e32 v18, 19, v12
	v_lshrrev_b32_e32 v22, 19, v13
	;; [unrolled: 1-line block ×3, first 2 shown]
	v_sub_nc_u16 v7, v0, v6
	v_lshrrev_b32_e32 v24, 19, v19
	v_mov_b32_e32 v26, 2
	v_mul_lo_u16 v9, v22, 11
	v_mul_lo_u16 v12, v23, 11
	v_lshrrev_b16 v7, 1, v7
	v_mul_lo_u16 v13, v24, 11
	s_waitcnt lgkmcnt(0)
	s_barrier
	buffer_gl0_inv
	v_and_b32_e32 v7, 0x7f, v7
	v_mul_u32_u24_e32 v24, 0x58, v24
	v_mul_u32_u24_e32 v23, 0x58, v23
	;; [unrolled: 1-line block ×3, first 2 shown]
	v_add_nc_u32_e32 v36, 0x680, v16
	v_add_nc_u16 v6, v7, v6
	v_mul_lo_u16 v7, v18, 11
	v_mul_u32_u24_e32 v18, 0x58, v18
	v_add_nc_u32_e32 v37, 0xd80, v16
	v_cmp_gt_u32_e64 s0, 0x42, v0
	v_lshrrev_b16 v6, 3, v6
	v_sub_nc_u16 v7, v8, v7
	v_sub_nc_u16 v8, v10, v9
	;; [unrolled: 1-line block ×4, first 2 shown]
	v_mul_lo_u16 v14, v6, 11
	v_lshlrev_b32_sdwa v25, v26, v7 dst_sel:DWORD dst_unused:UNUSED_PAD src0_sel:DWORD src1_sel:WORD_0
	v_lshlrev_b32_sdwa v27, v26, v8 dst_sel:DWORD dst_unused:UNUSED_PAD src0_sel:DWORD src1_sel:WORD_0
	;; [unrolled: 1-line block ×4, first 2 shown]
	v_sub_nc_u16 v11, v0, v14
	v_add_nc_u32_e32 v10, 0x1200, v16
	v_add_nc_u32_e32 v9, 0x900, v16
	;; [unrolled: 1-line block ×3, first 2 shown]
	v_add3_u32 v24, 0, v24, v29
	v_lshlrev_b32_sdwa v30, v26, v11 dst_sel:DWORD dst_unused:UNUSED_PAD src0_sel:DWORD src1_sel:BYTE_0
	s_clause 0x4
	global_load_dword v31, v25, s[8:9]
	global_load_dword v32, v27, s[8:9]
	;; [unrolled: 1-line block ×5, first 2 shown]
	ds_read2_b32 v[7:8], v16 offset1:154
	ds_read2_b32 v[10:11], v10 offset0:80 offset1:234
	ds_read2_b32 v[12:13], v4 offset0:52 offset1:206
	;; [unrolled: 1-line block ×4, first 2 shown]
	v_mov_b32_e32 v4, 0x58
	v_add3_u32 v23, 0, v23, v28
	v_add3_u32 v22, 0, v22, v27
	;; [unrolled: 1-line block ×3, first 2 shown]
	s_waitcnt vmcnt(0) lgkmcnt(0)
	v_mul_u32_u24_sdwa v4, v6, v4 dst_sel:DWORD dst_unused:UNUSED_PAD src0_sel:WORD_0 src1_sel:DWORD
	s_barrier
	buffer_gl0_inv
	v_add3_u32 v25, 0, v4, v30
	v_pk_mul_f16 v4, v31, v11 op_sel:[0,1]
	v_pk_mul_f16 v6, v32, v10 op_sel:[0,1]
	;; [unrolled: 1-line block ×5, first 2 shown]
	v_pk_fma_f16 v30, v31, v11, v4 op_sel:[0,0,1] op_sel_hi:[1,1,0] neg_lo:[0,0,1] neg_hi:[0,0,1]
	v_pk_fma_f16 v38, v32, v10, v6 op_sel:[0,0,1] op_sel_hi:[1,1,0] neg_lo:[0,0,1] neg_hi:[0,0,1]
	;; [unrolled: 1-line block ×5, first 2 shown]
	v_pk_fma_f16 v21, v35, v21, v29 op_sel:[0,0,1] op_sel_hi:[1,0,0]
	v_pk_fma_f16 v14, v34, v14, v28 op_sel:[0,0,1] op_sel_hi:[1,0,0]
	;; [unrolled: 1-line block ×5, first 2 shown]
	v_bfi_b32 v10, 0xffff, v41, v21
	v_bfi_b32 v11, 0xffff, v40, v14
	v_bfi_b32 v14, 0xffff, v39, v15
	v_bfi_b32 v6, 0xffff, v38, v6
	v_bfi_b32 v4, 0xffff, v30, v4
	v_pk_add_f16 v10, v7, v10 neg_lo:[0,1] neg_hi:[0,1]
	v_pk_add_f16 v11, v8, v11 neg_lo:[0,1] neg_hi:[0,1]
	;; [unrolled: 1-line block ×5, first 2 shown]
	v_pk_fma_f16 v15, v7, 2.0, v10 op_sel_hi:[1,0,1] neg_lo:[0,0,1] neg_hi:[0,0,1]
	v_pk_fma_f16 v8, v8, 2.0, v11 op_sel_hi:[1,0,1] neg_lo:[0,0,1] neg_hi:[0,0,1]
	;; [unrolled: 1-line block ×5, first 2 shown]
	ds_write2_b32 v25, v15, v10 offset1:11
	ds_write2_b32 v24, v8, v11 offset1:11
	;; [unrolled: 1-line block ×5, first 2 shown]
	s_waitcnt lgkmcnt(0)
	s_barrier
	buffer_gl0_inv
	ds_read2_b32 v[10:11], v16 offset1:220
	ds_read2_b32 v[14:15], v36 offset0:24 offset1:244
	ds_read2_b32 v[12:13], v37 offset0:16 offset1:236
	ds_read_b32 v29, v16 offset:5280
	v_lshrrev_b32_e32 v21, 16, v7
	v_lshrrev_b32_e32 v20, 16, v4
	;; [unrolled: 1-line block ×3, first 2 shown]
                                        ; implicit-def: $vgpr22
                                        ; implicit-def: $vgpr8
                                        ; implicit-def: $vgpr23
                                        ; implicit-def: $vgpr24
                                        ; implicit-def: $vgpr25
	s_and_saveexec_b32 s1, s0
	s_cbranch_execz .LBB0_15
; %bb.14:
	v_add_nc_u32_e32 v1, 0x200, v16
	v_add_nc_u32_e32 v8, 0x1000, v16
	ds_read2_b32 v[4:5], v9 offset0:18 offset1:238
	ds_read_b32 v24, v16 offset:5896
	ds_read2_b32 v[6:7], v1 offset0:26 offset1:246
	ds_read2_b32 v[8:9], v8 offset0:10 offset1:230
	ds_read_u16 v20, v16 offset:2378
	s_waitcnt lgkmcnt(4)
	v_lshrrev_b32_e32 v1, 16, v5
	s_waitcnt lgkmcnt(3)
	v_lshrrev_b32_e32 v23, 16, v24
	;; [unrolled: 2-line block ×4, first 2 shown]
	v_lshrrev_b32_e32 v25, 16, v9
	v_lshrrev_b32_e32 v21, 16, v7
.LBB0_15:
	s_or_b32 exec_lo, exec_lo, s1
	v_lshrrev_b16 v27, 1, v0
	v_mov_b32_e32 v28, 6
	s_waitcnt lgkmcnt(3)
	v_lshrrev_b32_e32 v38, 16, v11
	s_waitcnt lgkmcnt(2)
	v_lshrrev_b32_e32 v39, 16, v14
	;; [unrolled: 2-line block ×3, first 2 shown]
	v_and_b32_e32 v27, 0x7f, v27
	s_waitcnt lgkmcnt(0)
	v_lshrrev_b32_e32 v42, 16, v29
	v_lshrrev_b32_e32 v40, 16, v12
	v_mul_lo_u16 v27, 0xbb, v27
	v_lshrrev_b16 v36, 11, v27
	v_mul_lo_u16 v27, v36, 22
	v_sub_nc_u16 v37, v0, v27
	v_mul_u32_u24_sdwa v27, v37, v28 dst_sel:DWORD dst_unused:UNUSED_PAD src0_sel:BYTE_0 src1_sel:DWORD
	v_lshlrev_b32_sdwa v26, v26, v37 dst_sel:DWORD dst_unused:UNUSED_PAD src0_sel:DWORD src1_sel:BYTE_0
	v_lshrrev_b32_e32 v37, 16, v15
	v_lshlrev_b32_e32 v27, 2, v27
	s_clause 0x1
	global_load_dwordx4 v[30:33], v27, s[8:9] offset:44
	global_load_dwordx2 v[34:35], v27, s[8:9] offset:60
	v_mov_b32_e32 v27, 0x268
	s_waitcnt vmcnt(0)
	s_barrier
	buffer_gl0_inv
	v_mul_u32_u24_sdwa v36, v36, v27 dst_sel:DWORD dst_unused:UNUSED_PAD src0_sel:WORD_0 src1_sel:DWORD
	v_add3_u32 v26, 0, v36, v26
	v_mul_f16_sdwa v36, v30, v38 dst_sel:DWORD dst_unused:UNUSED_PAD src0_sel:WORD_1 src1_sel:DWORD
	v_mul_f16_sdwa v43, v30, v11 dst_sel:DWORD dst_unused:UNUSED_PAD src0_sel:WORD_1 src1_sel:DWORD
	;; [unrolled: 1-line block ×12, first 2 shown]
	v_fma_f16 v11, v30, v11, -v36
	v_fmac_f16_e32 v43, v30, v38
	v_fma_f16 v14, v31, v14, -v44
	v_fmac_f16_e32 v45, v31, v39
	;; [unrolled: 2-line block ×6, first 2 shown]
	v_add_f16_e32 v30, v11, v29
	v_add_f16_e32 v31, v43, v53
	v_add_f16_e32 v32, v14, v13
	v_add_f16_e32 v33, v45, v51
	v_sub_f16_e32 v11, v11, v29
	v_sub_f16_e32 v29, v43, v53
	;; [unrolled: 1-line block ×4, first 2 shown]
	v_add_f16_e32 v34, v15, v12
	v_add_f16_e32 v35, v47, v49
	v_sub_f16_e32 v12, v12, v15
	v_sub_f16_e32 v15, v49, v47
	v_add_f16_e32 v36, v32, v30
	v_add_f16_e32 v37, v33, v31
	v_sub_f16_e32 v38, v32, v30
	v_sub_f16_e32 v39, v33, v31
	;; [unrolled: 1-line block ×6, first 2 shown]
	v_add_f16_e32 v40, v12, v13
	v_add_f16_e32 v41, v15, v14
	v_sub_f16_e32 v42, v12, v13
	v_sub_f16_e32 v43, v15, v14
	;; [unrolled: 1-line block ×4, first 2 shown]
	v_add_f16_e32 v34, v34, v36
	v_add_f16_e32 v35, v35, v37
	v_sub_f16_e32 v12, v11, v12
	v_sub_f16_e32 v15, v29, v15
	v_add_f16_e32 v11, v40, v11
	v_add_f16_e32 v29, v41, v29
	v_mul_f16_e32 v30, 0x3a52, v30
	v_mul_f16_e32 v31, 0x3a52, v31
	;; [unrolled: 1-line block ×8, first 2 shown]
	v_add_f16_e32 v44, v34, v10
	v_add_f16_sdwa v10, v35, v10 dst_sel:DWORD dst_unused:UNUSED_PAD src0_sel:DWORD src1_sel:WORD_1
	v_fmamk_f16 v32, v32, 0x2b26, v30
	v_fmamk_f16 v33, v33, 0x2b26, v31
	v_fma_f16 v36, v38, 0x39e0, -v36
	v_fma_f16 v37, v39, 0x39e0, -v37
	;; [unrolled: 1-line block ×4, first 2 shown]
	v_fmamk_f16 v38, v12, 0x3574, v40
	v_fmamk_f16 v39, v15, 0x3574, v41
	v_fma_f16 v13, v13, 0x3b00, -v40
	v_fma_f16 v14, v14, 0x3b00, -v41
	;; [unrolled: 1-line block ×4, first 2 shown]
	v_fmamk_f16 v34, v34, 0xbcab, v44
	v_fmamk_f16 v35, v35, 0xbcab, v10
	v_fmac_f16_e32 v38, 0x370e, v11
	v_fmac_f16_e32 v39, 0x370e, v29
	;; [unrolled: 1-line block ×6, first 2 shown]
	v_add_f16_e32 v11, v32, v34
	v_add_f16_e32 v29, v33, v35
	v_add_f16_e32 v32, v36, v34
	v_add_f16_e32 v30, v30, v34
	v_add_f16_e32 v31, v31, v35
	v_add_f16_e32 v33, v37, v35
	v_add_f16_e32 v34, v39, v11
	v_sub_f16_e32 v35, v29, v38
	v_add_f16_e32 v36, v15, v30
	v_sub_f16_e32 v37, v31, v12
	v_sub_f16_e32 v40, v32, v14
	v_add_f16_e32 v41, v13, v33
	v_add_f16_e32 v14, v14, v32
	v_sub_f16_e32 v13, v33, v13
	v_sub_f16_e32 v15, v30, v15
	v_add_f16_e32 v12, v12, v31
	v_sub_f16_e32 v11, v11, v39
	v_add_f16_e32 v29, v38, v29
	v_pack_b32_f16 v10, v44, v10
	v_pack_b32_f16 v30, v34, v35
	;; [unrolled: 1-line block ×7, first 2 shown]
	ds_write2_b32 v26, v10, v30 offset1:22
	ds_write2_b32 v26, v31, v32 offset0:44 offset1:66
	ds_write2_b32 v26, v13, v12 offset0:88 offset1:110
	ds_write_b32 v26, v11 offset:528
	s_and_saveexec_b32 s1, s0
	s_cbranch_execz .LBB0_17
; %bb.16:
	v_lshrrev_b32_e32 v10, 20, v19
	v_mov_b32_e32 v26, 2
	v_mul_lo_u16 v10, v10, 22
	v_sub_nc_u16 v19, v17, v10
	v_lshrrev_b16 v17, 1, v17
	v_mul_u32_u24_sdwa v10, v19, v28 dst_sel:DWORD dst_unused:UNUSED_PAD src0_sel:WORD_0 src1_sel:DWORD
	v_and_b32_e32 v17, 0x7f, v17
	v_lshlrev_b32_sdwa v19, v26, v19 dst_sel:DWORD dst_unused:UNUSED_PAD src0_sel:DWORD src1_sel:WORD_0
	v_lshlrev_b32_e32 v14, 2, v10
	v_mul_lo_u16 v17, 0xbb, v17
	s_clause 0x1
	global_load_dwordx4 v[10:13], v14, s[8:9] offset:44
	global_load_dwordx2 v[14:15], v14, s[8:9] offset:60
	v_lshrrev_b16 v17, 11, v17
	v_mul_u32_u24_sdwa v17, v17, v27 dst_sel:DWORD dst_unused:UNUSED_PAD src0_sel:WORD_0 src1_sel:DWORD
	v_add3_u32 v17, 0, v17, v19
	s_waitcnt vmcnt(1)
	v_mul_f16_sdwa v19, v21, v10 dst_sel:DWORD dst_unused:UNUSED_PAD src0_sel:DWORD src1_sel:WORD_1
	s_waitcnt vmcnt(0)
	v_mul_f16_sdwa v26, v23, v15 dst_sel:DWORD dst_unused:UNUSED_PAD src0_sel:DWORD src1_sel:WORD_1
	v_mul_f16_sdwa v29, v20, v11 dst_sel:DWORD dst_unused:UNUSED_PAD src0_sel:DWORD src1_sel:WORD_1
	;; [unrolled: 1-line block ×11, first 2 shown]
	v_fma_f16 v7, v7, v10, -v19
	v_fma_f16 v19, v24, v15, -v26
	;; [unrolled: 1-line block ×4, first 2 shown]
	v_fmac_f16_e32 v31, v23, v15
	v_fmac_f16_e32 v32, v21, v10
	;; [unrolled: 1-line block ×4, first 2 shown]
	v_fma_f16 v8, v8, v13, -v27
	v_fma_f16 v5, v5, v12, -v28
	v_fmac_f16_e32 v33, v1, v12
	v_fmac_f16_e32 v34, v22, v13
	v_sub_f16_e32 v1, v7, v19
	v_sub_f16_e32 v11, v4, v9
	v_add_f16_e32 v12, v32, v31
	v_add_f16_e32 v14, v36, v35
	;; [unrolled: 1-line block ×4, first 2 shown]
	v_sub_f16_e32 v10, v8, v5
	v_add_f16_e32 v13, v33, v34
	v_add_f16_e32 v5, v5, v8
	v_sub_f16_e32 v8, v32, v31
	v_sub_f16_e32 v9, v34, v33
	;; [unrolled: 1-line block ×3, first 2 shown]
	v_add_f16_e32 v23, v14, v12
	v_add_f16_e32 v26, v4, v7
	v_sub_f16_e32 v19, v1, v10
	v_sub_f16_e32 v20, v10, v11
	v_add_f16_e32 v10, v10, v11
	v_sub_f16_e32 v21, v12, v13
	v_sub_f16_e32 v22, v13, v14
	;; [unrolled: 1-line block ×6, first 2 shown]
	v_add_f16_e32 v9, v9, v15
	v_sub_f16_e32 v11, v11, v1
	v_sub_f16_e32 v4, v4, v7
	;; [unrolled: 1-line block ×3, first 2 shown]
	v_add_f16_e32 v13, v13, v23
	v_add_f16_e32 v5, v5, v26
	v_sub_f16_e32 v12, v14, v12
	v_mul_f16_e32 v14, 0xb846, v20
	v_add_f16_e32 v1, v10, v1
	v_mul_f16_e32 v10, 0x3a52, v21
	v_mul_f16_e32 v20, 0x3a52, v24
	;; [unrolled: 1-line block ×3, first 2 shown]
	v_add_f16_e32 v8, v9, v8
	v_mul_f16_e32 v9, 0x3b00, v11
	v_mul_f16_e32 v24, 0x3b00, v7
	v_add_f16_e32 v18, v18, v13
	v_add_f16_e32 v6, v6, v5
	v_mul_f16_e32 v15, 0x2b26, v22
	v_mul_f16_e32 v21, 0x2b26, v25
	v_fmamk_f16 v26, v19, 0x3574, v14
	v_fmamk_f16 v22, v22, 0x2b26, v10
	;; [unrolled: 1-line block ×4, first 2 shown]
	v_fma_f16 v9, v19, 0xb574, -v9
	v_fma_f16 v19, v4, 0xb9e0, -v20
	;; [unrolled: 1-line block ×5, first 2 shown]
	v_fmamk_f16 v13, v13, 0xbcab, v18
	v_fmamk_f16 v5, v5, 0xbcab, v6
	v_fma_f16 v10, v12, 0xb9e0, -v10
	v_fma_f16 v12, v12, 0x39e0, -v15
	v_fma_f16 v4, v4, 0x39e0, -v21
	v_fmac_f16_e32 v26, 0x370e, v1
	v_fmac_f16_e32 v28, 0x370e, v8
	;; [unrolled: 1-line block ×6, first 2 shown]
	v_pack_b32_f16 v1, v6, v18
	v_add_f16_e32 v6, v22, v13
	v_add_f16_e32 v8, v25, v5
	;; [unrolled: 1-line block ×7, first 2 shown]
	v_sub_f16_e32 v13, v8, v28
	v_sub_f16_e32 v6, v6, v26
	v_add_f16_e32 v8, v28, v8
	v_add_f16_e32 v15, v9, v10
	v_sub_f16_e32 v18, v12, v11
	v_add_f16_e32 v11, v11, v12
	v_sub_f16_e32 v9, v10, v9
	v_add_f16_e32 v10, v20, v14
	v_sub_f16_e32 v12, v4, v7
	v_add_f16_e32 v4, v7, v4
	v_sub_f16_e32 v7, v14, v20
	v_pack_b32_f16 v6, v8, v6
	v_pack_b32_f16 v8, v10, v9
	;; [unrolled: 1-line block ×6, first 2 shown]
	ds_write2_b32 v17, v1, v6 offset1:22
	ds_write2_b32 v17, v8, v9 offset0:44 offset1:66
	ds_write2_b32 v17, v4, v7 offset0:88 offset1:110
	ds_write_b32 v17, v5 offset:528
.LBB0_17:
	s_or_b32 exec_lo, exec_lo, s1
	v_lshlrev_b32_e32 v6, 2, v0
	v_mov_b32_e32 v7, 0
	s_waitcnt lgkmcnt(0)
	s_barrier
	buffer_gl0_inv
	v_add_nc_u32_e32 v27, 0x400, v16
	v_lshlrev_b64 v[4:5], 2, v[6:7]
	v_add_nc_u32_e32 v30, 0x1200, v16
	v_add_nc_u32_e32 v28, 0x900, v16
	;; [unrolled: 1-line block ×3, first 2 shown]
	ds_read2_b32 v[12:13], v16 offset1:154
	v_mov_b32_e32 v1, v7
	v_add_co_u32 v4, s0, s8, v4
	v_add_co_ci_u32_e64 v5, s0, s9, v5, s0
	s_add_u32 s1, s8, 0x17e4
	s_addc_u32 s4, s9, 0
	s_mov_b32 s5, exec_lo
	global_load_dwordx4 v[8:11], v[4:5], off offset:572
	ds_read2_b32 v[14:15], v27 offset0:52 offset1:206
	ds_read2_b32 v[17:18], v28 offset0:40 offset1:194
	;; [unrolled: 1-line block ×4, first 2 shown]
	v_lshlrev_b64 v[4:5], 2, v[0:1]
	s_waitcnt vmcnt(0) lgkmcnt(0)
	s_barrier
	buffer_gl0_inv
	v_add_co_u32 v1, s0, s8, v4
	v_add_co_ci_u32_e64 v7, s0, s9, v5, s0
	v_lshrrev_b32_e32 v31, 16, v12
	v_add_co_u32 v23, s0, 0x800, v1
	v_add_co_ci_u32_e64 v24, s0, 0, v7, s0
	v_add_co_u32 v25, s0, 0x1000, v1
	v_lshrrev_b32_e32 v34, 16, v14
	v_lshrrev_b32_e32 v35, 16, v17
	;; [unrolled: 1-line block ×4, first 2 shown]
	v_add_co_ci_u32_e64 v26, s0, 0, v7, s0
	v_lshrrev_b32_e32 v1, 16, v18
	v_lshrrev_b32_e32 v7, 16, v20
	;; [unrolled: 1-line block ×5, first 2 shown]
	v_mul_f16_sdwa v39, v8, v34 dst_sel:DWORD dst_unused:UNUSED_PAD src0_sel:WORD_1 src1_sel:DWORD
	v_mul_f16_sdwa v40, v8, v14 dst_sel:DWORD dst_unused:UNUSED_PAD src0_sel:WORD_1 src1_sel:DWORD
	v_mul_f16_sdwa v41, v9, v35 dst_sel:DWORD dst_unused:UNUSED_PAD src0_sel:WORD_1 src1_sel:DWORD
	v_mul_f16_sdwa v42, v9, v17 dst_sel:DWORD dst_unused:UNUSED_PAD src0_sel:WORD_1 src1_sel:DWORD
	v_mul_f16_sdwa v43, v10, v36 dst_sel:DWORD dst_unused:UNUSED_PAD src0_sel:WORD_1 src1_sel:DWORD
	v_mul_f16_sdwa v44, v10, v19 dst_sel:DWORD dst_unused:UNUSED_PAD src0_sel:WORD_1 src1_sel:DWORD
	v_mul_f16_sdwa v45, v11, v37 dst_sel:DWORD dst_unused:UNUSED_PAD src0_sel:WORD_1 src1_sel:DWORD
	v_mul_f16_sdwa v46, v11, v21 dst_sel:DWORD dst_unused:UNUSED_PAD src0_sel:WORD_1 src1_sel:DWORD
	v_mul_f16_sdwa v47, v8, v38 dst_sel:DWORD dst_unused:UNUSED_PAD src0_sel:WORD_1 src1_sel:DWORD
	v_mul_f16_sdwa v48, v8, v15 dst_sel:DWORD dst_unused:UNUSED_PAD src0_sel:WORD_1 src1_sel:DWORD
	v_mul_f16_sdwa v49, v1, v9 dst_sel:DWORD dst_unused:UNUSED_PAD src0_sel:DWORD src1_sel:WORD_1
	v_mul_f16_sdwa v50, v18, v9 dst_sel:DWORD dst_unused:UNUSED_PAD src0_sel:DWORD src1_sel:WORD_1
	;; [unrolled: 1-line block ×6, first 2 shown]
	v_fma_f16 v14, v8, v14, -v39
	v_fmac_f16_e32 v40, v8, v34
	v_fma_f16 v17, v9, v17, -v41
	v_fmac_f16_e32 v42, v9, v35
	;; [unrolled: 2-line block ×8, first 2 shown]
	v_add_f16_e32 v9, v12, v14
	v_add_f16_e32 v10, v17, v19
	v_sub_f16_e32 v20, v14, v17
	v_sub_f16_e32 v22, v21, v19
	v_add_f16_e32 v33, v14, v21
	v_add_f16_e32 v36, v31, v40
	;; [unrolled: 1-line block ×4, first 2 shown]
	v_sub_f16_e32 v34, v17, v14
	v_sub_f16_e32 v35, v19, v21
	;; [unrolled: 1-line block ×4, first 2 shown]
	v_add_f16_e32 v47, v13, v15
	v_add_f16_e32 v49, v8, v1
	;; [unrolled: 1-line block ×5, first 2 shown]
	v_sub_f16_e32 v11, v40, v46
	v_sub_f16_e32 v14, v14, v21
	;; [unrolled: 1-line block ×5, first 2 shown]
	v_add_f16_e32 v60, v32, v48
	v_add_f16_e32 v9, v9, v17
	v_fma_f16 v10, -0.5, v10, v12
	v_add_f16_e32 v17, v20, v22
	v_fma_f16 v12, -0.5, v33, v12
	;; [unrolled: 2-line block ×3, first 2 shown]
	v_sub_f16_e32 v18, v42, v44
	v_fmac_f16_e32 v31, -0.5, v43
	v_sub_f16_e32 v51, v48, v54
	v_sub_f16_e32 v53, v50, v52
	;; [unrolled: 1-line block ×9, first 2 shown]
	v_add_f16_e32 v20, v34, v35
	v_add_f16_e32 v34, v39, v41
	v_add_f16_e32 v8, v47, v8
	v_fma_f16 v36, -0.5, v49, v13
	v_fmac_f16_e32 v13, -0.5, v57
	v_fma_f16 v41, -0.5, v61, v32
	v_fmac_f16_e32 v32, -0.5, v65
	v_add_f16_e32 v35, v40, v45
	v_add_f16_e32 v40, v60, v50
	;; [unrolled: 1-line block ×3, first 2 shown]
	v_fmamk_f16 v19, v11, 0x3b9c, v10
	v_add_f16_e32 v22, v22, v44
	v_fmamk_f16 v44, v14, 0xbb9c, v33
	v_fmamk_f16 v45, v18, 0xbb9c, v12
	v_fmac_f16_e32 v12, 0x3b9c, v18
	v_fmamk_f16 v47, v38, 0x3b9c, v31
	v_fmac_f16_e32 v31, 0xbb9c, v38
	v_fmac_f16_e32 v10, 0xbb9c, v11
	;; [unrolled: 1-line block ×3, first 2 shown]
	v_sub_f16_e32 v56, v7, v1
	v_sub_f16_e32 v59, v1, v7
	;; [unrolled: 1-line block ×3, first 2 shown]
	v_add_f16_e32 v43, v48, v66
	v_add_f16_e32 v1, v8, v1
	v_fmamk_f16 v8, v51, 0x3b9c, v36
	v_fmamk_f16 v48, v53, 0xbb9c, v13
	v_fmamk_f16 v49, v15, 0xbb9c, v41
	v_fmamk_f16 v50, v62, 0x3b9c, v32
	v_fmac_f16_e32 v36, 0xbb9c, v51
	v_fmac_f16_e32 v13, 0x3b9c, v53
	;; [unrolled: 1-line block ×4, first 2 shown]
	v_add_f16_e32 v40, v40, v52
	v_fmac_f16_e32 v19, 0x38b4, v18
	v_fmac_f16_e32 v44, 0xb8b4, v38
	;; [unrolled: 1-line block ×8, first 2 shown]
	v_add_f16_e32 v37, v55, v56
	v_add_f16_e32 v39, v58, v59
	;; [unrolled: 1-line block ×3, first 2 shown]
	v_fmac_f16_e32 v8, 0x38b4, v53
	v_fmac_f16_e32 v48, 0x38b4, v51
	v_fmac_f16_e32 v49, 0xb8b4, v62
	v_fmac_f16_e32 v50, 0xb8b4, v15
	v_fmac_f16_e32 v36, 0xb8b4, v53
	v_fmac_f16_e32 v13, 0xb8b4, v51
	v_fmac_f16_e32 v41, 0x38b4, v62
	v_fmac_f16_e32 v32, 0x38b4, v15
	v_add_f16_e32 v9, v9, v21
	v_add_f16_e32 v11, v22, v46
	;; [unrolled: 1-line block ×4, first 2 shown]
	v_fmac_f16_e32 v19, 0x34f2, v17
	v_fmac_f16_e32 v44, 0x34f2, v34
	;; [unrolled: 1-line block ×16, first 2 shown]
	v_pack_b32_f16 v9, v9, v11
	v_pack_b32_f16 v1, v1, v7
	;; [unrolled: 1-line block ×10, first 2 shown]
	ds_write2_b32 v16, v9, v7 offset1:154
	ds_write2_b32 v27, v11, v12 offset0:52 offset1:206
	ds_write2_b32 v28, v10, v1 offset0:40 offset1:194
	;; [unrolled: 1-line block ×4, first 2 shown]
	s_waitcnt lgkmcnt(0)
	s_barrier
	buffer_gl0_inv
	s_clause 0x4
	global_load_dword v1, v[23:24], off offset:988
	global_load_dword v15, v[23:24], off offset:1604
	;; [unrolled: 1-line block ×5, first 2 shown]
	ds_read2_b32 v[7:8], v28 offset0:40 offset1:194
	ds_read2_b32 v[9:10], v29 offset0:28 offset1:182
	;; [unrolled: 1-line block ×3, first 2 shown]
	ds_read2_b32 v[13:14], v16 offset1:154
	ds_read2_b32 v[17:18], v27 offset0:52 offset1:206
	s_waitcnt vmcnt(0) lgkmcnt(0)
	s_barrier
	buffer_gl0_inv
	v_pk_mul_f16 v22, v1, v8 op_sel:[0,1]
	v_pk_mul_f16 v23, v15, v9 op_sel:[0,1]
	;; [unrolled: 1-line block ×5, first 2 shown]
	v_pk_fma_f16 v31, v1, v8, v22 op_sel:[0,0,1] op_sel_hi:[1,1,0] neg_lo:[0,0,1] neg_hi:[0,0,1]
	v_pk_fma_f16 v1, v1, v8, v22 op_sel:[0,0,1] op_sel_hi:[1,0,0]
	v_pk_fma_f16 v8, v15, v9, v23 op_sel:[0,0,1] op_sel_hi:[1,1,0] neg_lo:[0,0,1] neg_hi:[0,0,1]
	v_pk_fma_f16 v9, v15, v9, v23 op_sel:[0,0,1] op_sel_hi:[1,0,0]
	;; [unrolled: 2-line block ×5, first 2 shown]
	v_bfi_b32 v1, 0xffff, v31, v1
	v_bfi_b32 v8, 0xffff, v8, v9
	;; [unrolled: 1-line block ×5, first 2 shown]
	v_pk_add_f16 v1, v13, v1 neg_lo:[0,1] neg_hi:[0,1]
	v_pk_add_f16 v8, v14, v8 neg_lo:[0,1] neg_hi:[0,1]
	v_pk_add_f16 v9, v17, v9 neg_lo:[0,1] neg_hi:[0,1]
	v_pk_add_f16 v10, v18, v10 neg_lo:[0,1] neg_hi:[0,1]
	v_pk_add_f16 v11, v7, v11 neg_lo:[0,1] neg_hi:[0,1]
	v_pk_fma_f16 v12, v13, 2.0, v1 op_sel_hi:[1,0,1] neg_lo:[0,0,1] neg_hi:[0,0,1]
	v_pk_fma_f16 v13, v14, 2.0, v8 op_sel_hi:[1,0,1] neg_lo:[0,0,1] neg_hi:[0,0,1]
	;; [unrolled: 1-line block ×5, first 2 shown]
	ds_write2_b32 v29, v8, v9 offset0:28 offset1:182
	ds_write2_b32 v30, v10, v11 offset0:80 offset1:234
	ds_write2_b32 v16, v12, v13 offset1:154
	ds_write2_b32 v27, v14, v15 offset0:52 offset1:206
	ds_write2_b32 v28, v7, v1 offset0:40 offset1:194
	s_waitcnt lgkmcnt(0)
	s_barrier
	buffer_gl0_inv
	ds_read_b32 v9, v16
	v_sub_nc_u32_e32 v1, 0, v6
                                        ; implicit-def: $vgpr8
                                        ; implicit-def: $vgpr6
                                        ; implicit-def: $vgpr7
	v_cmpx_ne_u32_e32 0, v0
	s_xor_b32 s5, exec_lo, s5
	s_cbranch_execz .LBB0_19
; %bb.18:
	v_add_co_u32 v6, s0, s1, v4
	v_add_co_ci_u32_e64 v7, s0, s4, v5, s0
	global_load_dword v6, v[6:7], off
	ds_read_b32 v7, v1 offset:6160
	s_waitcnt lgkmcnt(0)
	v_pk_add_f16 v8, v9, v7 neg_lo:[0,1] neg_hi:[0,1]
	v_pk_add_f16 v7, v7, v9
	v_bfi_b32 v9, 0xffff, v8, v7
	v_bfi_b32 v7, 0xffff, v7, v8
	v_pk_mul_f16 v9, v9, 0.5 op_sel_hi:[1,0]
	v_pk_mul_f16 v10, v7, 0.5 op_sel_hi:[1,0]
	s_waitcnt vmcnt(0)
	v_pk_mul_f16 v8, v6, v9 op_sel:[1,0]
	v_pk_mul_f16 v9, v6, v9 op_sel_hi:[0,1]
	v_pk_fma_f16 v6, v7, 0.5, v8 op_sel_hi:[1,0,1]
	v_sub_f16_e32 v7, v10, v8
	v_sub_f16_sdwa v10, v8, v10 dst_sel:DWORD dst_unused:UNUSED_PAD src0_sel:WORD_1 src1_sel:WORD_1
	v_pk_add_f16 v11, v6, v9 op_sel:[0,1] op_sel_hi:[1,0]
	v_pk_add_f16 v12, v6, v9 op_sel:[0,1] op_sel_hi:[1,0] neg_lo:[0,1] neg_hi:[0,1]
	v_sub_f16_sdwa v6, v7, v9 dst_sel:DWORD dst_unused:UNUSED_PAD src0_sel:DWORD src1_sel:WORD_1
	v_sub_f16_e32 v7, v10, v9
                                        ; implicit-def: $vgpr9
	v_bfi_b32 v8, 0xffff, v11, v12
.LBB0_19:
	s_andn2_saveexec_b32 s0, s5
	s_cbranch_execz .LBB0_21
; %bb.20:
	v_mov_b32_e32 v7, 0
	s_waitcnt lgkmcnt(0)
	v_alignbit_b32 v6, s0, v9, 16
	ds_read_u16 v8, v7 offset:3082
	v_pk_add_f16 v10, v6, v9
	v_sub_f16_sdwa v6, v9, v9 dst_sel:DWORD dst_unused:UNUSED_PAD src0_sel:DWORD src1_sel:WORD_1
	s_waitcnt lgkmcnt(0)
	v_xor_b32_e32 v9, 0x8000, v8
	v_pack_b32_f16 v8, v10, 0
	ds_write_b16 v7, v9 offset:3082
.LBB0_21:
	s_or_b32 exec_lo, exec_lo, s0
	s_waitcnt lgkmcnt(0)
	v_add_co_u32 v9, s0, s1, v4
	v_add_co_ci_u32_e64 v10, s0, s4, v5, s0
	s_clause 0x2
	global_load_dword v11, v[9:10], off offset:616
	global_load_dword v12, v[9:10], off offset:1232
	;; [unrolled: 1-line block ×3, first 2 shown]
	v_add_co_u32 v9, s0, 0x800, v9
	v_add_co_ci_u32_e64 v10, s0, 0, v10, s0
	global_load_dword v9, v[9:10], off offset:416
	ds_write_b16 v1, v7 offset:6162
	ds_write_b32 v16, v8
	ds_write_b16 v1, v6 offset:6160
	ds_read_b32 v6, v16 offset:616
	ds_read_b32 v7, v1 offset:5544
	s_waitcnt lgkmcnt(0)
	v_pk_add_f16 v8, v6, v7 neg_lo:[0,1] neg_hi:[0,1]
	v_pk_add_f16 v6, v6, v7
	v_bfi_b32 v7, 0xffff, v8, v6
	v_bfi_b32 v6, 0xffff, v6, v8
	v_pk_mul_f16 v7, v7, 0.5 op_sel_hi:[1,0]
	v_pk_mul_f16 v10, v6, 0.5 op_sel_hi:[1,0]
	s_waitcnt vmcnt(3)
	v_pk_mul_f16 v8, v11, v7 op_sel:[1,0]
	v_pk_mul_f16 v7, v11, v7 op_sel_hi:[0,1]
	v_pk_fma_f16 v6, v6, 0.5, v8 op_sel_hi:[1,0,1]
	v_sub_f16_sdwa v11, v8, v10 dst_sel:DWORD dst_unused:UNUSED_PAD src0_sel:WORD_1 src1_sel:WORD_1
	v_sub_f16_e32 v8, v10, v8
	v_pk_add_f16 v14, v6, v7 op_sel:[0,1] op_sel_hi:[1,0]
	v_pk_add_f16 v6, v6, v7 op_sel:[0,1] op_sel_hi:[1,0] neg_lo:[0,1] neg_hi:[0,1]
	v_sub_f16_e32 v10, v11, v7
	v_sub_f16_sdwa v7, v8, v7 dst_sel:DWORD dst_unused:UNUSED_PAD src0_sel:DWORD src1_sel:WORD_1
	v_bfi_b32 v6, 0xffff, v14, v6
	ds_write_b16 v1, v10 offset:5546
	ds_write_b32 v16, v6 offset:616
	ds_write_b16 v1, v7 offset:5544
	ds_read_b32 v6, v16 offset:1232
	ds_read_b32 v7, v1 offset:4928
	s_waitcnt lgkmcnt(0)
	v_pk_add_f16 v8, v6, v7 neg_lo:[0,1] neg_hi:[0,1]
	v_pk_add_f16 v6, v6, v7
	v_bfi_b32 v7, 0xffff, v8, v6
	v_bfi_b32 v6, 0xffff, v6, v8
	v_pk_mul_f16 v7, v7, 0.5 op_sel_hi:[1,0]
	v_pk_mul_f16 v6, v6, 0.5 op_sel_hi:[1,0]
	s_waitcnt vmcnt(2)
	v_pk_mul_f16 v10, v12, v7 op_sel_hi:[0,1]
	v_pk_fma_f16 v8, v12, v7, v6 op_sel:[1,0,0]
	v_pk_fma_f16 v11, v12, v7, v6 op_sel:[1,0,0] neg_lo:[1,0,0] neg_hi:[1,0,0]
	v_pk_fma_f16 v6, v12, v7, v6 op_sel:[1,0,0] neg_lo:[0,0,1] neg_hi:[0,0,1]
	v_pk_add_f16 v7, v8, v10 op_sel:[0,1] op_sel_hi:[1,0]
	v_pk_add_f16 v8, v8, v10 op_sel:[0,1] op_sel_hi:[1,0] neg_lo:[0,1] neg_hi:[0,1]
	v_pk_add_f16 v11, v11, v10 op_sel:[0,1] op_sel_hi:[1,0] neg_lo:[0,1] neg_hi:[0,1]
	v_pk_add_f16 v6, v6, v10 op_sel:[0,1] op_sel_hi:[1,0] neg_lo:[0,1] neg_hi:[0,1]
	v_bfi_b32 v7, 0xffff, v7, v8
	v_bfi_b32 v6, 0xffff, v11, v6
	ds_write_b32 v16, v7 offset:1232
	ds_write_b32 v1, v6 offset:4928
	ds_read_b32 v6, v16 offset:1848
	ds_read_b32 v7, v1 offset:4312
	s_waitcnt lgkmcnt(0)
	v_pk_add_f16 v8, v6, v7 neg_lo:[0,1] neg_hi:[0,1]
	v_pk_add_f16 v6, v6, v7
	v_bfi_b32 v7, 0xffff, v8, v6
	v_bfi_b32 v6, 0xffff, v6, v8
	v_pk_mul_f16 v7, v7, 0.5 op_sel_hi:[1,0]
	v_pk_mul_f16 v6, v6, 0.5 op_sel_hi:[1,0]
	s_waitcnt vmcnt(1)
	v_pk_mul_f16 v10, v13, v7 op_sel_hi:[0,1]
	v_pk_fma_f16 v8, v13, v7, v6 op_sel:[1,0,0]
	v_pk_fma_f16 v11, v13, v7, v6 op_sel:[1,0,0] neg_lo:[1,0,0] neg_hi:[1,0,0]
	v_pk_fma_f16 v6, v13, v7, v6 op_sel:[1,0,0] neg_lo:[0,0,1] neg_hi:[0,0,1]
	v_pk_add_f16 v7, v8, v10 op_sel:[0,1] op_sel_hi:[1,0]
	v_pk_add_f16 v8, v8, v10 op_sel:[0,1] op_sel_hi:[1,0] neg_lo:[0,1] neg_hi:[0,1]
	v_pk_add_f16 v11, v11, v10 op_sel:[0,1] op_sel_hi:[1,0] neg_lo:[0,1] neg_hi:[0,1]
	v_pk_add_f16 v6, v6, v10 op_sel:[0,1] op_sel_hi:[1,0] neg_lo:[0,1] neg_hi:[0,1]
	v_bfi_b32 v7, 0xffff, v7, v8
	v_bfi_b32 v6, 0xffff, v11, v6
	ds_write_b32 v16, v7 offset:1848
	ds_write_b32 v1, v6 offset:4312
	ds_read_b32 v6, v16 offset:2464
	ds_read_b32 v7, v1 offset:3696
	s_waitcnt lgkmcnt(0)
	v_pk_add_f16 v8, v6, v7 neg_lo:[0,1] neg_hi:[0,1]
	v_pk_add_f16 v6, v6, v7
	v_bfi_b32 v7, 0xffff, v8, v6
	v_bfi_b32 v6, 0xffff, v6, v8
	v_pk_mul_f16 v7, v7, 0.5 op_sel_hi:[1,0]
	v_pk_mul_f16 v6, v6, 0.5 op_sel_hi:[1,0]
	s_waitcnt vmcnt(0)
	v_pk_mul_f16 v10, v9, v7 op_sel_hi:[0,1]
	v_pk_fma_f16 v8, v9, v7, v6 op_sel:[1,0,0]
	v_pk_fma_f16 v11, v9, v7, v6 op_sel:[1,0,0] neg_lo:[1,0,0] neg_hi:[1,0,0]
	v_pk_fma_f16 v6, v9, v7, v6 op_sel:[1,0,0] neg_lo:[0,0,1] neg_hi:[0,0,1]
	v_pk_add_f16 v7, v8, v10 op_sel:[0,1] op_sel_hi:[1,0]
	v_pk_add_f16 v8, v8, v10 op_sel:[0,1] op_sel_hi:[1,0] neg_lo:[0,1] neg_hi:[0,1]
	v_pk_add_f16 v9, v11, v10 op_sel:[0,1] op_sel_hi:[1,0] neg_lo:[0,1] neg_hi:[0,1]
	v_pk_add_f16 v6, v6, v10 op_sel:[0,1] op_sel_hi:[1,0] neg_lo:[0,1] neg_hi:[0,1]
	v_bfi_b32 v7, 0xffff, v7, v8
	v_bfi_b32 v6, 0xffff, v9, v6
	ds_write_b32 v16, v7 offset:2464
	ds_write_b32 v1, v6 offset:3696
	s_waitcnt lgkmcnt(0)
	s_barrier
	buffer_gl0_inv
	s_and_saveexec_b32 s0, vcc_lo
	s_cbranch_execz .LBB0_24
; %bb.22:
	v_add_nc_u32_e32 v1, 0x400, v16
	ds_read2_b32 v[6:7], v16 offset1:154
	v_add_nc_u32_e32 v10, 0x900, v16
	v_add_nc_u32_e32 v12, 0xe00, v16
	;; [unrolled: 1-line block ×3, first 2 shown]
	ds_read2_b32 v[8:9], v1 offset0:52 offset1:206
	v_add_co_u32 v1, vcc_lo, s2, v2
	ds_read2_b32 v[10:11], v10 offset0:40 offset1:194
	ds_read2_b32 v[12:13], v12 offset0:28 offset1:182
	ds_read2_b32 v[14:15], v14 offset0:80 offset1:234
	v_add_co_ci_u32_e32 v2, vcc_lo, s3, v3, vcc_lo
	v_add_co_u32 v3, vcc_lo, v1, v4
	v_add_co_ci_u32_e32 v4, vcc_lo, v2, v5, vcc_lo
	v_add_co_u32 v16, vcc_lo, 0x800, v3
	s_waitcnt lgkmcnt(4)
	global_store_dword v[3:4], v6, off
	global_store_dword v[3:4], v7, off offset:616
	s_waitcnt lgkmcnt(3)
	global_store_dword v[3:4], v8, off offset:1232
	global_store_dword v[3:4], v9, off offset:1848
	v_add_co_ci_u32_e32 v17, vcc_lo, 0, v4, vcc_lo
	v_add_co_u32 v3, vcc_lo, 0x1000, v3
	v_add_co_ci_u32_e32 v4, vcc_lo, 0, v4, vcc_lo
	v_cmp_eq_u32_e32 vcc_lo, 0x99, v0
	s_waitcnt lgkmcnt(2)
	global_store_dword v[16:17], v10, off offset:416
	global_store_dword v[16:17], v11, off offset:1032
	s_waitcnt lgkmcnt(1)
	global_store_dword v[16:17], v12, off offset:1648
	global_store_dword v[3:4], v13, off offset:216
	;; [unrolled: 3-line block ×3, first 2 shown]
	s_and_b32 exec_lo, exec_lo, vcc_lo
	s_cbranch_execz .LBB0_24
; %bb.23:
	v_mov_b32_e32 v0, 0
	ds_read_b32 v3, v0 offset:6160
	v_add_co_u32 v0, vcc_lo, 0x1800, v1
	v_add_co_ci_u32_e32 v1, vcc_lo, 0, v2, vcc_lo
	s_waitcnt lgkmcnt(0)
	global_store_dword v[0:1], v3, off offset:16
.LBB0_24:
	s_endpgm
	.section	.rodata,"a",@progbits
	.p2align	6, 0x0
	.amdhsa_kernel fft_rtc_fwd_len1540_factors_11_2_7_5_2_wgs_154_tpt_154_halfLds_half_ip_CI_unitstride_sbrr_R2C_dirReg
		.amdhsa_group_segment_fixed_size 0
		.amdhsa_private_segment_fixed_size 0
		.amdhsa_kernarg_size 88
		.amdhsa_user_sgpr_count 6
		.amdhsa_user_sgpr_private_segment_buffer 1
		.amdhsa_user_sgpr_dispatch_ptr 0
		.amdhsa_user_sgpr_queue_ptr 0
		.amdhsa_user_sgpr_kernarg_segment_ptr 1
		.amdhsa_user_sgpr_dispatch_id 0
		.amdhsa_user_sgpr_flat_scratch_init 0
		.amdhsa_user_sgpr_private_segment_size 0
		.amdhsa_wavefront_size32 1
		.amdhsa_uses_dynamic_stack 0
		.amdhsa_system_sgpr_private_segment_wavefront_offset 0
		.amdhsa_system_sgpr_workgroup_id_x 1
		.amdhsa_system_sgpr_workgroup_id_y 0
		.amdhsa_system_sgpr_workgroup_id_z 0
		.amdhsa_system_sgpr_workgroup_info 0
		.amdhsa_system_vgpr_workitem_id 0
		.amdhsa_next_free_vgpr 68
		.amdhsa_next_free_sgpr 21
		.amdhsa_reserve_vcc 1
		.amdhsa_reserve_flat_scratch 0
		.amdhsa_float_round_mode_32 0
		.amdhsa_float_round_mode_16_64 0
		.amdhsa_float_denorm_mode_32 3
		.amdhsa_float_denorm_mode_16_64 3
		.amdhsa_dx10_clamp 1
		.amdhsa_ieee_mode 1
		.amdhsa_fp16_overflow 0
		.amdhsa_workgroup_processor_mode 1
		.amdhsa_memory_ordered 1
		.amdhsa_forward_progress 0
		.amdhsa_shared_vgpr_count 0
		.amdhsa_exception_fp_ieee_invalid_op 0
		.amdhsa_exception_fp_denorm_src 0
		.amdhsa_exception_fp_ieee_div_zero 0
		.amdhsa_exception_fp_ieee_overflow 0
		.amdhsa_exception_fp_ieee_underflow 0
		.amdhsa_exception_fp_ieee_inexact 0
		.amdhsa_exception_int_div_zero 0
	.end_amdhsa_kernel
	.text
.Lfunc_end0:
	.size	fft_rtc_fwd_len1540_factors_11_2_7_5_2_wgs_154_tpt_154_halfLds_half_ip_CI_unitstride_sbrr_R2C_dirReg, .Lfunc_end0-fft_rtc_fwd_len1540_factors_11_2_7_5_2_wgs_154_tpt_154_halfLds_half_ip_CI_unitstride_sbrr_R2C_dirReg
                                        ; -- End function
	.section	.AMDGPU.csdata,"",@progbits
; Kernel info:
; codeLenInByte = 9684
; NumSgprs: 23
; NumVgprs: 68
; ScratchSize: 0
; MemoryBound: 0
; FloatMode: 240
; IeeeMode: 1
; LDSByteSize: 0 bytes/workgroup (compile time only)
; SGPRBlocks: 2
; VGPRBlocks: 8
; NumSGPRsForWavesPerEU: 23
; NumVGPRsForWavesPerEU: 68
; Occupancy: 12
; WaveLimiterHint : 1
; COMPUTE_PGM_RSRC2:SCRATCH_EN: 0
; COMPUTE_PGM_RSRC2:USER_SGPR: 6
; COMPUTE_PGM_RSRC2:TRAP_HANDLER: 0
; COMPUTE_PGM_RSRC2:TGID_X_EN: 1
; COMPUTE_PGM_RSRC2:TGID_Y_EN: 0
; COMPUTE_PGM_RSRC2:TGID_Z_EN: 0
; COMPUTE_PGM_RSRC2:TIDIG_COMP_CNT: 0
	.text
	.p2alignl 6, 3214868480
	.fill 48, 4, 3214868480
	.type	__hip_cuid_ad421ac366bd795f,@object ; @__hip_cuid_ad421ac366bd795f
	.section	.bss,"aw",@nobits
	.globl	__hip_cuid_ad421ac366bd795f
__hip_cuid_ad421ac366bd795f:
	.byte	0                               ; 0x0
	.size	__hip_cuid_ad421ac366bd795f, 1

	.ident	"AMD clang version 19.0.0git (https://github.com/RadeonOpenCompute/llvm-project roc-6.4.0 25133 c7fe45cf4b819c5991fe208aaa96edf142730f1d)"
	.section	".note.GNU-stack","",@progbits
	.addrsig
	.addrsig_sym __hip_cuid_ad421ac366bd795f
	.amdgpu_metadata
---
amdhsa.kernels:
  - .args:
      - .actual_access:  read_only
        .address_space:  global
        .offset:         0
        .size:           8
        .value_kind:     global_buffer
      - .offset:         8
        .size:           8
        .value_kind:     by_value
      - .actual_access:  read_only
        .address_space:  global
        .offset:         16
        .size:           8
        .value_kind:     global_buffer
      - .actual_access:  read_only
        .address_space:  global
        .offset:         24
        .size:           8
        .value_kind:     global_buffer
      - .offset:         32
        .size:           8
        .value_kind:     by_value
      - .actual_access:  read_only
        .address_space:  global
        .offset:         40
        .size:           8
        .value_kind:     global_buffer
      - .actual_access:  read_only
        .address_space:  global
        .offset:         48
        .size:           8
        .value_kind:     global_buffer
      - .offset:         56
        .size:           4
        .value_kind:     by_value
      - .actual_access:  read_only
        .address_space:  global
        .offset:         64
        .size:           8
        .value_kind:     global_buffer
      - .actual_access:  read_only
        .address_space:  global
        .offset:         72
        .size:           8
        .value_kind:     global_buffer
      - .address_space:  global
        .offset:         80
        .size:           8
        .value_kind:     global_buffer
    .group_segment_fixed_size: 0
    .kernarg_segment_align: 8
    .kernarg_segment_size: 88
    .language:       OpenCL C
    .language_version:
      - 2
      - 0
    .max_flat_workgroup_size: 154
    .name:           fft_rtc_fwd_len1540_factors_11_2_7_5_2_wgs_154_tpt_154_halfLds_half_ip_CI_unitstride_sbrr_R2C_dirReg
    .private_segment_fixed_size: 0
    .sgpr_count:     23
    .sgpr_spill_count: 0
    .symbol:         fft_rtc_fwd_len1540_factors_11_2_7_5_2_wgs_154_tpt_154_halfLds_half_ip_CI_unitstride_sbrr_R2C_dirReg.kd
    .uniform_work_group_size: 1
    .uses_dynamic_stack: false
    .vgpr_count:     68
    .vgpr_spill_count: 0
    .wavefront_size: 32
    .workgroup_processor_mode: 1
amdhsa.target:   amdgcn-amd-amdhsa--gfx1030
amdhsa.version:
  - 1
  - 2
...

	.end_amdgpu_metadata
